;; amdgpu-corpus repo=ROCm/rocFFT kind=compiled arch=gfx1201 opt=O3
	.text
	.amdgcn_target "amdgcn-amd-amdhsa--gfx1201"
	.amdhsa_code_object_version 6
	.protected	fft_rtc_back_len1232_factors_2_2_2_2_11_7_wgs_176_tpt_176_halfLds_dp_ip_CI_sbrr_dirReg ; -- Begin function fft_rtc_back_len1232_factors_2_2_2_2_11_7_wgs_176_tpt_176_halfLds_dp_ip_CI_sbrr_dirReg
	.globl	fft_rtc_back_len1232_factors_2_2_2_2_11_7_wgs_176_tpt_176_halfLds_dp_ip_CI_sbrr_dirReg
	.p2align	8
	.type	fft_rtc_back_len1232_factors_2_2_2_2_11_7_wgs_176_tpt_176_halfLds_dp_ip_CI_sbrr_dirReg,@function
fft_rtc_back_len1232_factors_2_2_2_2_11_7_wgs_176_tpt_176_halfLds_dp_ip_CI_sbrr_dirReg: ; @fft_rtc_back_len1232_factors_2_2_2_2_11_7_wgs_176_tpt_176_halfLds_dp_ip_CI_sbrr_dirReg
; %bb.0:
	s_clause 0x2
	s_load_b64 s[12:13], s[0:1], 0x18
	s_load_b128 s[4:7], s[0:1], 0x0
	s_load_b64 s[8:9], s[0:1], 0x50
	v_mul_u32_u24_e32 v1, 0x175, v0
	v_mov_b32_e32 v3, 0
	s_delay_alu instid0(VALU_DEP_2) | instskip(NEXT) | instid1(VALU_DEP_1)
	v_lshrrev_b32_e32 v1, 16, v1
	v_add_nc_u32_e32 v5, ttmp9, v1
	v_mov_b32_e32 v1, 0
	v_mov_b32_e32 v2, 0
	;; [unrolled: 1-line block ×3, first 2 shown]
	s_wait_kmcnt 0x0
	s_load_b64 s[10:11], s[12:13], 0x0
	v_cmp_lt_u64_e64 s2, s[6:7], 2
	s_delay_alu instid0(VALU_DEP_1)
	s_and_b32 vcc_lo, exec_lo, s2
	s_cbranch_vccnz .LBB0_8
; %bb.1:
	s_load_b64 s[2:3], s[0:1], 0x10
	v_mov_b32_e32 v1, 0
	v_mov_b32_e32 v2, 0
	s_add_nc_u64 s[14:15], s[12:13], 8
	s_mov_b64 s[16:17], 1
	s_wait_kmcnt 0x0
	s_add_nc_u64 s[18:19], s[2:3], 8
	s_mov_b32 s3, 0
.LBB0_2:                                ; =>This Inner Loop Header: Depth=1
	s_load_b64 s[20:21], s[18:19], 0x0
                                        ; implicit-def: $vgpr7_vgpr8
	s_mov_b32 s2, exec_lo
	s_wait_kmcnt 0x0
	v_or_b32_e32 v4, s21, v6
	s_delay_alu instid0(VALU_DEP_1)
	v_cmpx_ne_u64_e32 0, v[3:4]
	s_wait_alu 0xfffe
	s_xor_b32 s22, exec_lo, s2
	s_cbranch_execz .LBB0_4
; %bb.3:                                ;   in Loop: Header=BB0_2 Depth=1
	s_cvt_f32_u32 s2, s20
	s_cvt_f32_u32 s23, s21
	s_sub_nc_u64 s[26:27], 0, s[20:21]
	s_wait_alu 0xfffe
	s_delay_alu instid0(SALU_CYCLE_1) | instskip(SKIP_1) | instid1(SALU_CYCLE_2)
	s_fmamk_f32 s2, s23, 0x4f800000, s2
	s_wait_alu 0xfffe
	v_s_rcp_f32 s2, s2
	s_delay_alu instid0(TRANS32_DEP_1) | instskip(SKIP_1) | instid1(SALU_CYCLE_2)
	s_mul_f32 s2, s2, 0x5f7ffffc
	s_wait_alu 0xfffe
	s_mul_f32 s23, s2, 0x2f800000
	s_wait_alu 0xfffe
	s_delay_alu instid0(SALU_CYCLE_2) | instskip(SKIP_1) | instid1(SALU_CYCLE_2)
	s_trunc_f32 s23, s23
	s_wait_alu 0xfffe
	s_fmamk_f32 s2, s23, 0xcf800000, s2
	s_cvt_u32_f32 s25, s23
	s_wait_alu 0xfffe
	s_delay_alu instid0(SALU_CYCLE_1) | instskip(SKIP_1) | instid1(SALU_CYCLE_2)
	s_cvt_u32_f32 s24, s2
	s_wait_alu 0xfffe
	s_mul_u64 s[28:29], s[26:27], s[24:25]
	s_wait_alu 0xfffe
	s_mul_hi_u32 s31, s24, s29
	s_mul_i32 s30, s24, s29
	s_mul_hi_u32 s2, s24, s28
	s_mul_i32 s33, s25, s28
	s_wait_alu 0xfffe
	s_add_nc_u64 s[30:31], s[2:3], s[30:31]
	s_mul_hi_u32 s23, s25, s28
	s_mul_hi_u32 s34, s25, s29
	s_add_co_u32 s2, s30, s33
	s_wait_alu 0xfffe
	s_add_co_ci_u32 s2, s31, s23
	s_mul_i32 s28, s25, s29
	s_add_co_ci_u32 s29, s34, 0
	s_wait_alu 0xfffe
	s_add_nc_u64 s[28:29], s[2:3], s[28:29]
	s_wait_alu 0xfffe
	v_add_co_u32 v4, s2, s24, s28
	s_delay_alu instid0(VALU_DEP_1) | instskip(SKIP_1) | instid1(VALU_DEP_1)
	s_cmp_lg_u32 s2, 0
	s_add_co_ci_u32 s25, s25, s29
	v_readfirstlane_b32 s24, v4
	s_wait_alu 0xfffe
	s_delay_alu instid0(VALU_DEP_1)
	s_mul_u64 s[26:27], s[26:27], s[24:25]
	s_wait_alu 0xfffe
	s_mul_hi_u32 s29, s24, s27
	s_mul_i32 s28, s24, s27
	s_mul_hi_u32 s2, s24, s26
	s_mul_i32 s30, s25, s26
	s_wait_alu 0xfffe
	s_add_nc_u64 s[28:29], s[2:3], s[28:29]
	s_mul_hi_u32 s23, s25, s26
	s_mul_hi_u32 s24, s25, s27
	s_wait_alu 0xfffe
	s_add_co_u32 s2, s28, s30
	s_add_co_ci_u32 s2, s29, s23
	s_mul_i32 s26, s25, s27
	s_add_co_ci_u32 s27, s24, 0
	s_wait_alu 0xfffe
	s_add_nc_u64 s[26:27], s[2:3], s[26:27]
	s_wait_alu 0xfffe
	v_add_co_u32 v4, s2, v4, s26
	s_delay_alu instid0(VALU_DEP_1) | instskip(SKIP_1) | instid1(VALU_DEP_1)
	s_cmp_lg_u32 s2, 0
	s_add_co_ci_u32 s2, s25, s27
	v_mul_hi_u32 v13, v5, v4
	s_wait_alu 0xfffe
	v_mad_co_u64_u32 v[7:8], null, v5, s2, 0
	v_mad_co_u64_u32 v[9:10], null, v6, v4, 0
	;; [unrolled: 1-line block ×3, first 2 shown]
	s_delay_alu instid0(VALU_DEP_3) | instskip(SKIP_1) | instid1(VALU_DEP_4)
	v_add_co_u32 v4, vcc_lo, v13, v7
	s_wait_alu 0xfffd
	v_add_co_ci_u32_e32 v7, vcc_lo, 0, v8, vcc_lo
	s_delay_alu instid0(VALU_DEP_2) | instskip(SKIP_1) | instid1(VALU_DEP_2)
	v_add_co_u32 v4, vcc_lo, v4, v9
	s_wait_alu 0xfffd
	v_add_co_ci_u32_e32 v4, vcc_lo, v7, v10, vcc_lo
	s_wait_alu 0xfffd
	v_add_co_ci_u32_e32 v7, vcc_lo, 0, v12, vcc_lo
	s_delay_alu instid0(VALU_DEP_2) | instskip(SKIP_1) | instid1(VALU_DEP_2)
	v_add_co_u32 v4, vcc_lo, v4, v11
	s_wait_alu 0xfffd
	v_add_co_ci_u32_e32 v9, vcc_lo, 0, v7, vcc_lo
	s_delay_alu instid0(VALU_DEP_2) | instskip(SKIP_1) | instid1(VALU_DEP_3)
	v_mul_lo_u32 v10, s21, v4
	v_mad_co_u64_u32 v[7:8], null, s20, v4, 0
	v_mul_lo_u32 v11, s20, v9
	s_delay_alu instid0(VALU_DEP_2) | instskip(NEXT) | instid1(VALU_DEP_2)
	v_sub_co_u32 v7, vcc_lo, v5, v7
	v_add3_u32 v8, v8, v11, v10
	s_delay_alu instid0(VALU_DEP_1) | instskip(SKIP_1) | instid1(VALU_DEP_1)
	v_sub_nc_u32_e32 v10, v6, v8
	s_wait_alu 0xfffd
	v_subrev_co_ci_u32_e64 v10, s2, s21, v10, vcc_lo
	v_add_co_u32 v11, s2, v4, 2
	s_wait_alu 0xf1ff
	v_add_co_ci_u32_e64 v12, s2, 0, v9, s2
	v_sub_co_u32 v13, s2, v7, s20
	v_sub_co_ci_u32_e32 v8, vcc_lo, v6, v8, vcc_lo
	s_wait_alu 0xf1ff
	v_subrev_co_ci_u32_e64 v10, s2, 0, v10, s2
	s_delay_alu instid0(VALU_DEP_3) | instskip(NEXT) | instid1(VALU_DEP_3)
	v_cmp_le_u32_e32 vcc_lo, s20, v13
	v_cmp_eq_u32_e64 s2, s21, v8
	s_wait_alu 0xfffd
	v_cndmask_b32_e64 v13, 0, -1, vcc_lo
	v_cmp_le_u32_e32 vcc_lo, s21, v10
	s_wait_alu 0xfffd
	v_cndmask_b32_e64 v14, 0, -1, vcc_lo
	v_cmp_le_u32_e32 vcc_lo, s20, v7
	;; [unrolled: 3-line block ×3, first 2 shown]
	s_wait_alu 0xfffd
	v_cndmask_b32_e64 v15, 0, -1, vcc_lo
	v_cmp_eq_u32_e32 vcc_lo, s21, v10
	s_wait_alu 0xf1ff
	s_delay_alu instid0(VALU_DEP_2)
	v_cndmask_b32_e64 v7, v15, v7, s2
	s_wait_alu 0xfffd
	v_cndmask_b32_e32 v10, v14, v13, vcc_lo
	v_add_co_u32 v13, vcc_lo, v4, 1
	s_wait_alu 0xfffd
	v_add_co_ci_u32_e32 v14, vcc_lo, 0, v9, vcc_lo
	s_delay_alu instid0(VALU_DEP_3) | instskip(SKIP_2) | instid1(VALU_DEP_3)
	v_cmp_ne_u32_e32 vcc_lo, 0, v10
	s_wait_alu 0xfffd
	v_cndmask_b32_e32 v10, v13, v11, vcc_lo
	v_cndmask_b32_e32 v8, v14, v12, vcc_lo
	v_cmp_ne_u32_e32 vcc_lo, 0, v7
	s_wait_alu 0xfffd
	s_delay_alu instid0(VALU_DEP_2)
	v_dual_cndmask_b32 v7, v4, v10 :: v_dual_cndmask_b32 v8, v9, v8
.LBB0_4:                                ;   in Loop: Header=BB0_2 Depth=1
	s_wait_alu 0xfffe
	s_and_not1_saveexec_b32 s2, s22
	s_cbranch_execz .LBB0_6
; %bb.5:                                ;   in Loop: Header=BB0_2 Depth=1
	v_cvt_f32_u32_e32 v4, s20
	s_sub_co_i32 s22, 0, s20
	s_delay_alu instid0(VALU_DEP_1) | instskip(NEXT) | instid1(TRANS32_DEP_1)
	v_rcp_iflag_f32_e32 v4, v4
	v_mul_f32_e32 v4, 0x4f7ffffe, v4
	s_delay_alu instid0(VALU_DEP_1) | instskip(SKIP_1) | instid1(VALU_DEP_1)
	v_cvt_u32_f32_e32 v4, v4
	s_wait_alu 0xfffe
	v_mul_lo_u32 v7, s22, v4
	s_delay_alu instid0(VALU_DEP_1) | instskip(NEXT) | instid1(VALU_DEP_1)
	v_mul_hi_u32 v7, v4, v7
	v_add_nc_u32_e32 v4, v4, v7
	s_delay_alu instid0(VALU_DEP_1) | instskip(NEXT) | instid1(VALU_DEP_1)
	v_mul_hi_u32 v4, v5, v4
	v_mul_lo_u32 v7, v4, s20
	v_add_nc_u32_e32 v8, 1, v4
	s_delay_alu instid0(VALU_DEP_2) | instskip(NEXT) | instid1(VALU_DEP_1)
	v_sub_nc_u32_e32 v7, v5, v7
	v_subrev_nc_u32_e32 v9, s20, v7
	v_cmp_le_u32_e32 vcc_lo, s20, v7
	s_wait_alu 0xfffd
	s_delay_alu instid0(VALU_DEP_2) | instskip(NEXT) | instid1(VALU_DEP_1)
	v_dual_cndmask_b32 v7, v7, v9 :: v_dual_cndmask_b32 v4, v4, v8
	v_cmp_le_u32_e32 vcc_lo, s20, v7
	s_delay_alu instid0(VALU_DEP_2) | instskip(SKIP_1) | instid1(VALU_DEP_1)
	v_add_nc_u32_e32 v8, 1, v4
	s_wait_alu 0xfffd
	v_dual_cndmask_b32 v7, v4, v8 :: v_dual_mov_b32 v8, v3
.LBB0_6:                                ;   in Loop: Header=BB0_2 Depth=1
	s_wait_alu 0xfffe
	s_or_b32 exec_lo, exec_lo, s2
	s_load_b64 s[22:23], s[14:15], 0x0
	s_delay_alu instid0(VALU_DEP_1)
	v_mul_lo_u32 v4, v8, s20
	v_mul_lo_u32 v11, v7, s21
	v_mad_co_u64_u32 v[9:10], null, v7, s20, 0
	s_add_nc_u64 s[16:17], s[16:17], 1
	s_add_nc_u64 s[14:15], s[14:15], 8
	s_wait_alu 0xfffe
	v_cmp_ge_u64_e64 s2, s[16:17], s[6:7]
	s_add_nc_u64 s[18:19], s[18:19], 8
	s_delay_alu instid0(VALU_DEP_2) | instskip(NEXT) | instid1(VALU_DEP_3)
	v_add3_u32 v4, v10, v11, v4
	v_sub_co_u32 v5, vcc_lo, v5, v9
	s_wait_alu 0xfffd
	s_delay_alu instid0(VALU_DEP_2) | instskip(SKIP_3) | instid1(VALU_DEP_2)
	v_sub_co_ci_u32_e32 v4, vcc_lo, v6, v4, vcc_lo
	s_and_b32 vcc_lo, exec_lo, s2
	s_wait_kmcnt 0x0
	v_mul_lo_u32 v6, s23, v5
	v_mul_lo_u32 v4, s22, v4
	v_mad_co_u64_u32 v[1:2], null, s22, v5, v[1:2]
	s_delay_alu instid0(VALU_DEP_1)
	v_add3_u32 v2, v6, v2, v4
	s_wait_alu 0xfffe
	s_cbranch_vccnz .LBB0_9
; %bb.7:                                ;   in Loop: Header=BB0_2 Depth=1
	v_dual_mov_b32 v5, v7 :: v_dual_mov_b32 v6, v8
	s_branch .LBB0_2
.LBB0_8:
	v_dual_mov_b32 v8, v6 :: v_dual_mov_b32 v7, v5
.LBB0_9:
	s_lshl_b64 s[2:3], s[6:7], 3
	v_mul_hi_u32 v3, 0x1745d18, v0
	s_wait_alu 0xfffe
	s_add_nc_u64 s[2:3], s[12:13], s[2:3]
	s_load_b64 s[2:3], s[2:3], 0x0
	s_load_b64 s[0:1], s[0:1], 0x20
	s_delay_alu instid0(VALU_DEP_1) | instskip(NEXT) | instid1(VALU_DEP_1)
	v_mul_u32_u24_e32 v3, 0xb0, v3
	v_sub_nc_u32_e32 v61, v0, v3
	s_delay_alu instid0(VALU_DEP_1)
	v_add_nc_u32_e32 v42, 0xb0, v61
	v_add_nc_u32_e32 v43, 0x160, v61
	s_wait_kmcnt 0x0
	v_mul_lo_u32 v4, s2, v8
	v_mul_lo_u32 v5, s3, v7
	v_mad_co_u64_u32 v[1:2], null, s2, v7, v[1:2]
	v_cmp_gt_u64_e32 vcc_lo, s[0:1], v[7:8]
	v_cmp_le_u64_e64 s0, s[0:1], v[7:8]
                                        ; implicit-def: $sgpr2
	s_delay_alu instid0(VALU_DEP_3) | instskip(NEXT) | instid1(VALU_DEP_2)
	v_add3_u32 v2, v5, v2, v4
	s_and_saveexec_b32 s1, s0
	s_wait_alu 0xfffe
	s_xor_b32 s0, exec_lo, s1
; %bb.10:
	v_add_nc_u32_e32 v42, 0xb0, v61
	v_add_nc_u32_e32 v43, 0x160, v61
	s_mov_b32 s2, 0
; %bb.11:
	s_wait_alu 0xfffe
	s_or_saveexec_b32 s1, s0
	v_lshlrev_b64_e32 v[40:41], 4, v[1:2]
	v_mov_b32_e32 v60, s2
                                        ; implicit-def: $vgpr34_vgpr35
                                        ; implicit-def: $vgpr30_vgpr31
                                        ; implicit-def: $vgpr18_vgpr19
                                        ; implicit-def: $vgpr6_vgpr7
                                        ; implicit-def: $vgpr22_vgpr23
                                        ; implicit-def: $vgpr10_vgpr11
                                        ; implicit-def: $vgpr26_vgpr27
                                        ; implicit-def: $vgpr14_vgpr15
	s_wait_alu 0xfffe
	s_xor_b32 exec_lo, exec_lo, s1
	s_cbranch_execz .LBB0_15
; %bb.12:
	v_mad_co_u64_u32 v[2:3], null, s10, v61, 0
	v_add_nc_u32_e32 v10, 0x268, v61
	v_mad_co_u64_u32 v[6:7], null, s10, v42, 0
	s_mov_b32 s2, exec_lo
                                        ; implicit-def: $vgpr32_vgpr33
	v_add_nc_u32_e32 v16, 0x3c8, v61
	s_delay_alu instid0(VALU_DEP_3) | instskip(SKIP_1) | instid1(VALU_DEP_1)
	v_mad_co_u64_u32 v[4:5], null, s10, v10, 0
	v_mov_b32_e32 v0, v3
	v_mad_co_u64_u32 v[0:1], null, s11, v61, v[0:1]
	s_delay_alu instid0(VALU_DEP_3) | instskip(SKIP_1) | instid1(VALU_DEP_3)
	v_dual_mov_b32 v1, v5 :: v_dual_add_nc_u32 v14, 0x318, v61
	v_mov_b32_e32 v5, v7
	v_mov_b32_e32 v3, v0
	s_delay_alu instid0(VALU_DEP_3) | instskip(NEXT) | instid1(VALU_DEP_4)
	v_mad_co_u64_u32 v[8:9], null, s10, v14, 0
	v_mad_co_u64_u32 v[10:11], null, s11, v10, v[1:2]
	s_delay_alu instid0(VALU_DEP_4) | instskip(SKIP_1) | instid1(VALU_DEP_4)
	v_mad_co_u64_u32 v[11:12], null, s11, v42, v[5:6]
	v_mad_co_u64_u32 v[12:13], null, s10, v43, 0
	v_mov_b32_e32 v7, v9
	v_lshlrev_b64_e32 v[2:3], 4, v[2:3]
	v_mov_b32_e32 v5, v10
	v_add_co_u32 v0, s0, s8, v40
	s_delay_alu instid0(VALU_DEP_4)
	v_mad_co_u64_u32 v[9:10], null, s11, v14, v[7:8]
	v_mov_b32_e32 v10, v13
	v_mad_co_u64_u32 v[14:15], null, s10, v16, 0
	v_mov_b32_e32 v7, v11
	s_wait_alu 0xf1ff
	v_add_co_ci_u32_e64 v1, s0, s9, v41, s0
	v_mad_co_u64_u32 v[10:11], null, s11, v43, v[10:11]
	v_lshlrev_b64_e32 v[4:5], 4, v[4:5]
	v_mov_b32_e32 v11, v15
	v_add_co_u32 v2, s0, v0, v2
	v_lshlrev_b64_e32 v[6:7], 4, v[6:7]
	s_wait_alu 0xf1ff
	v_add_co_ci_u32_e64 v3, s0, v1, v3, s0
	v_add_co_u32 v4, s0, v0, v4
	v_mad_co_u64_u32 v[15:16], null, s11, v16, v[11:12]
	v_lshlrev_b64_e32 v[8:9], 4, v[8:9]
	v_mov_b32_e32 v13, v10
	s_wait_alu 0xf1ff
	v_add_co_ci_u32_e64 v5, s0, v1, v5, s0
	v_add_co_u32 v6, s0, v0, v6
	s_wait_alu 0xf1ff
	v_add_co_ci_u32_e64 v7, s0, v1, v7, s0
	v_lshlrev_b64_e32 v[10:11], 4, v[12:13]
	v_add_co_u32 v16, s0, v0, v8
	s_wait_alu 0xf1ff
	v_add_co_ci_u32_e64 v17, s0, v1, v9, s0
	v_lshlrev_b64_e32 v[8:9], 4, v[14:15]
	s_delay_alu instid0(VALU_DEP_4) | instskip(SKIP_2) | instid1(VALU_DEP_3)
	v_add_co_u32 v18, s0, v0, v10
	s_wait_alu 0xf1ff
	v_add_co_ci_u32_e64 v19, s0, v1, v11, s0
	v_add_co_u32 v28, s0, v0, v8
	s_wait_alu 0xf1ff
	v_add_co_ci_u32_e64 v29, s0, v1, v9, s0
	s_clause 0x5
	global_load_b128 v[12:15], v[2:3], off
	global_load_b128 v[24:27], v[4:5], off
	;; [unrolled: 1-line block ×6, first 2 shown]
                                        ; implicit-def: $vgpr28_vgpr29
	v_cmpx_gt_u32_e32 0x58, v61
	s_cbranch_execz .LBB0_14
; %bb.13:
	v_add_nc_u32_e32 v30, 0x210, v61
	s_delay_alu instid0(VALU_DEP_1) | instskip(SKIP_1) | instid1(VALU_DEP_1)
	v_mad_co_u64_u32 v[2:3], null, s10, v30, 0
	s_wait_loadcnt 0x1
	v_mad_co_u64_u32 v[30:31], null, s11, v30, v[3:4]
	s_delay_alu instid0(VALU_DEP_1) | instskip(NEXT) | instid1(VALU_DEP_1)
	v_dual_mov_b32 v3, v30 :: v_dual_add_nc_u32 v32, 0x478, v61
	v_mad_co_u64_u32 v[28:29], null, s10, v32, 0
	s_delay_alu instid0(VALU_DEP_2) | instskip(NEXT) | instid1(VALU_DEP_2)
	v_lshlrev_b64_e32 v[2:3], 4, v[2:3]
	v_mad_co_u64_u32 v[31:32], null, s11, v32, v[29:30]
	s_delay_alu instid0(VALU_DEP_2) | instskip(SKIP_1) | instid1(VALU_DEP_3)
	v_add_co_u32 v2, s0, v0, v2
	s_wait_alu 0xf1ff
	v_add_co_ci_u32_e64 v3, s0, v1, v3, s0
	s_delay_alu instid0(VALU_DEP_3) | instskip(NEXT) | instid1(VALU_DEP_1)
	v_mov_b32_e32 v29, v31
	v_lshlrev_b64_e32 v[28:29], 4, v[28:29]
	s_delay_alu instid0(VALU_DEP_1) | instskip(SKIP_1) | instid1(VALU_DEP_2)
	v_add_co_u32 v0, s0, v0, v28
	s_wait_alu 0xf1ff
	v_add_co_ci_u32_e64 v1, s0, v1, v29, s0
	s_clause 0x1
	global_load_b128 v[28:31], v[2:3], off
	global_load_b128 v[32:35], v[0:1], off
.LBB0_14:
	s_wait_alu 0xfffe
	s_or_b32 exec_lo, exec_lo, s2
	v_mov_b32_e32 v60, v61
.LBB0_15:
	s_or_b32 exec_lo, exec_lo, s1
	s_wait_loadcnt 0x4
	v_add_f64_e64 v[38:39], v[12:13], -v[24:25]
	s_wait_loadcnt 0x0
	v_add_f64_e64 v[2:3], v[28:29], -v[32:33]
	v_add_f64_e64 v[47:48], v[8:9], -v[20:21]
	;; [unrolled: 1-line block ×3, first 2 shown]
	v_add_nc_u32_e32 v44, 0x210, v61
	v_lshl_add_u32 v21, v61, 4, 0
	v_lshl_add_u32 v17, v42, 4, 0
	;; [unrolled: 1-line block ×3, first 2 shown]
	v_cmp_gt_u32_e64 s1, 0x58, v61
	v_lshl_add_u32 v20, v44, 4, 0
	v_fma_f64 v[36:37], v[12:13], 2.0, -v[38:39]
	v_fma_f64 v[0:1], v[28:29], 2.0, -v[2:3]
	;; [unrolled: 1-line block ×4, first 2 shown]
	ds_store_b128 v21, v[36:39]
	ds_store_b128 v17, v[45:48]
	;; [unrolled: 1-line block ×3, first 2 shown]
	s_and_saveexec_b32 s0, s1
	s_cbranch_execz .LBB0_17
; %bb.16:
	ds_store_b128 v20, v[0:3]
.LBB0_17:
	s_wait_alu 0xfffe
	s_or_b32 exec_lo, exec_lo, s0
	v_lshlrev_b32_e32 v8, 3, v61
	v_lshlrev_b32_e32 v32, 3, v43
	;; [unrolled: 1-line block ×3, first 2 shown]
	global_wb scope:SCOPE_SE
	s_wait_dscnt 0x0
	s_barrier_signal -1
	v_sub_nc_u32_e32 v4, v21, v8
	v_sub_nc_u32_e32 v5, v16, v32
	;; [unrolled: 1-line block ×3, first 2 shown]
	s_barrier_wait -1
	global_inv scope:SCOPE_SE
	v_add_nc_u32_e32 v9, 0x1200, v4
	v_sub_nc_u32_e32 v8, 0, v8
	ds_load_b64 v[24:25], v4
	ds_load_b64 v[12:13], v5
	ds_load_2addr_b64 v[36:39], v9 offset0:40 offset1:216
	ds_load_b64 v[28:29], v28
	ds_load_b64 v[4:5], v4 offset:7744
	v_add_nc_u32_e32 v62, v21, v8
	s_and_saveexec_b32 s0, s1
	s_cbranch_execz .LBB0_19
; %bb.18:
	ds_load_b64 v[0:1], v62 offset:4224
	ds_load_b64 v[2:3], v62 offset:9152
.LBB0_19:
	s_wait_alu 0xfffe
	s_or_b32 exec_lo, exec_lo, s0
	v_add_f64_e64 v[47:48], v[14:15], -v[26:27]
	v_add_f64_e64 v[55:56], v[6:7], -v[18:19]
	v_add_f64_e64 v[8:9], v[30:31], -v[34:35]
	v_add_f64_e64 v[51:52], v[10:11], -v[22:23]
	global_wb scope:SCOPE_SE
	s_wait_dscnt 0x0
	s_barrier_signal -1
	s_barrier_wait -1
	global_inv scope:SCOPE_SE
	v_fma_f64 v[45:46], v[14:15], 2.0, -v[47:48]
	v_fma_f64 v[53:54], v[6:7], 2.0, -v[55:56]
	;; [unrolled: 1-line block ×4, first 2 shown]
	v_sub_nc_u32_e32 v11, 0, v33
	v_sub_nc_u32_e32 v10, 0, v32
	ds_store_b128 v21, v[45:48]
	ds_store_b128 v17, v[49:52]
	;; [unrolled: 1-line block ×3, first 2 shown]
	s_and_saveexec_b32 s0, s1
	s_cbranch_execz .LBB0_21
; %bb.20:
	ds_store_b128 v20, v[6:9]
.LBB0_21:
	s_wait_alu 0xfffe
	s_or_b32 exec_lo, exec_lo, s0
	v_add_nc_u32_e32 v14, 0x1200, v62
	v_add_nc_u32_e32 v63, v17, v11
	;; [unrolled: 1-line block ×3, first 2 shown]
	global_wb scope:SCOPE_SE
	s_wait_dscnt 0x0
	s_barrier_signal -1
	s_barrier_wait -1
	global_inv scope:SCOPE_SE
	ds_load_2addr_b64 v[14:17], v14 offset0:40 offset1:216
	ds_load_b64 v[26:27], v63
	ds_load_b64 v[34:35], v62 offset:7744
	ds_load_b64 v[32:33], v62
	ds_load_b64 v[30:31], v64
	v_lshlrev_b32_e32 v59, 1, v61
	v_lshlrev_b32_e32 v57, 1, v42
	;; [unrolled: 1-line block ×3, first 2 shown]
	s_and_saveexec_b32 s0, s1
	s_cbranch_execz .LBB0_23
; %bb.22:
	ds_load_b64 v[6:7], v62 offset:4224
	ds_load_b64 v[8:9], v62 offset:9152
.LBB0_23:
	s_wait_alu 0xfffe
	s_or_b32 exec_lo, exec_lo, s0
	v_and_b32_e32 v48, 1, v61
	v_lshlrev_b32_e32 v58, 1, v44
	s_delay_alu instid0(VALU_DEP_2)
	v_lshlrev_b32_e32 v10, 4, v48
	v_and_or_b32 v44, 0x7fc, v56, v48
	global_load_b128 v[18:21], v10, s[4:5]
	v_lshl_add_u32 v49, v44, 3, 0
	global_wb scope:SCOPE_SE
	s_wait_loadcnt_dscnt 0x0
	s_barrier_signal -1
	s_barrier_wait -1
	global_inv scope:SCOPE_SE
	v_mul_f64_e32 v[10:11], v[14:15], v[20:21]
	v_mul_f64_e32 v[22:23], v[16:17], v[20:21]
	;; [unrolled: 1-line block ×4, first 2 shown]
	s_delay_alu instid0(VALU_DEP_4) | instskip(NEXT) | instid1(VALU_DEP_4)
	v_fma_f64 v[10:11], v[36:37], v[18:19], v[10:11]
	v_fma_f64 v[22:23], v[38:39], v[18:19], v[22:23]
	s_delay_alu instid0(VALU_DEP_4) | instskip(NEXT) | instid1(VALU_DEP_4)
	v_fma_f64 v[45:46], v[2:3], v[18:19], v[45:46]
	v_fma_f64 v[42:43], v[4:5], v[18:19], v[42:43]
	s_delay_alu instid0(VALU_DEP_4) | instskip(NEXT) | instid1(VALU_DEP_4)
	v_add_f64_e64 v[10:11], v[24:25], -v[10:11]
	v_add_f64_e64 v[50:51], v[28:29], -v[22:23]
	s_delay_alu instid0(VALU_DEP_4) | instskip(NEXT) | instid1(VALU_DEP_4)
	v_add_f64_e64 v[22:23], v[0:1], -v[45:46]
	v_add_f64_e64 v[42:43], v[12:13], -v[42:43]
	s_delay_alu instid0(VALU_DEP_4) | instskip(NEXT) | instid1(VALU_DEP_4)
	v_fma_f64 v[24:25], v[24:25], 2.0, -v[10:11]
	v_fma_f64 v[45:46], v[28:29], 2.0, -v[50:51]
	s_delay_alu instid0(VALU_DEP_4) | instskip(NEXT) | instid1(VALU_DEP_4)
	v_fma_f64 v[0:1], v[0:1], 2.0, -v[22:23]
	v_fma_f64 v[12:13], v[12:13], 2.0, -v[42:43]
	v_and_or_b32 v28, 0x1fc, v59, v48
	v_and_or_b32 v29, 0x3fc, v57, v48
	s_delay_alu instid0(VALU_DEP_2) | instskip(NEXT) | instid1(VALU_DEP_2)
	v_lshl_add_u32 v28, v28, 3, 0
	v_lshl_add_u32 v29, v29, 3, 0
	ds_store_2addr_b64 v28, v[24:25], v[10:11] offset1:2
	ds_store_2addr_b64 v29, v[45:46], v[50:51] offset1:2
	;; [unrolled: 1-line block ×3, first 2 shown]
	s_and_saveexec_b32 s0, s1
	s_cbranch_execz .LBB0_25
; %bb.24:
	v_and_or_b32 v10, 0x5fc, v58, v48
	s_delay_alu instid0(VALU_DEP_1)
	v_lshl_add_u32 v10, v10, 3, 0
	ds_store_2addr_b64 v10, v[0:1], v[22:23] offset1:2
.LBB0_25:
	s_wait_alu 0xfffe
	s_or_b32 exec_lo, exec_lo, s0
	v_add_nc_u32_e32 v10, 0x1200, v62
	global_wb scope:SCOPE_SE
	s_wait_dscnt 0x0
	s_barrier_signal -1
	s_barrier_wait -1
	global_inv scope:SCOPE_SE
	ds_load_2addr_b64 v[10:13], v10 offset0:40 offset1:216
	ds_load_b64 v[42:43], v63
	ds_load_b64 v[24:25], v62 offset:7744
	ds_load_b64 v[46:47], v62
	ds_load_b64 v[44:45], v64
	s_and_saveexec_b32 s0, s1
	s_cbranch_execz .LBB0_27
; %bb.26:
	ds_load_b64 v[0:1], v62 offset:4224
	ds_load_b64 v[22:23], v62 offset:9152
.LBB0_27:
	s_wait_alu 0xfffe
	s_or_b32 exec_lo, exec_lo, s0
	v_mul_f64_e32 v[36:37], v[36:37], v[20:21]
	v_mul_f64_e32 v[2:3], v[2:3], v[20:21]
	;; [unrolled: 1-line block ×4, first 2 shown]
	global_wb scope:SCOPE_SE
	s_wait_dscnt 0x0
	s_barrier_signal -1
	s_barrier_wait -1
	global_inv scope:SCOPE_SE
	v_fma_f64 v[14:15], v[14:15], v[18:19], -v[36:37]
	v_fma_f64 v[2:3], v[8:9], v[18:19], -v[2:3]
	;; [unrolled: 1-line block ×4, first 2 shown]
	s_delay_alu instid0(VALU_DEP_4) | instskip(NEXT) | instid1(VALU_DEP_4)
	v_add_f64_e64 v[14:15], v[32:33], -v[14:15]
	v_add_f64_e64 v[18:19], v[6:7], -v[2:3]
	s_delay_alu instid0(VALU_DEP_4) | instskip(NEXT) | instid1(VALU_DEP_4)
	v_add_f64_e64 v[16:17], v[26:27], -v[16:17]
	v_add_f64_e64 v[4:5], v[30:31], -v[4:5]
	s_delay_alu instid0(VALU_DEP_4) | instskip(NEXT) | instid1(VALU_DEP_4)
	v_fma_f64 v[2:3], v[32:33], 2.0, -v[14:15]
	v_fma_f64 v[8:9], v[6:7], 2.0, -v[18:19]
	s_delay_alu instid0(VALU_DEP_4) | instskip(NEXT) | instid1(VALU_DEP_4)
	v_fma_f64 v[20:21], v[26:27], 2.0, -v[16:17]
	v_fma_f64 v[26:27], v[30:31], 2.0, -v[4:5]
	ds_store_2addr_b64 v28, v[2:3], v[14:15] offset1:2
	ds_store_2addr_b64 v29, v[20:21], v[16:17] offset1:2
	;; [unrolled: 1-line block ×3, first 2 shown]
	s_and_saveexec_b32 s0, s1
	s_cbranch_execz .LBB0_29
; %bb.28:
	v_and_or_b32 v2, 0x5fc, v58, v48
	s_delay_alu instid0(VALU_DEP_1)
	v_lshl_add_u32 v2, v2, 3, 0
	ds_store_2addr_b64 v2, v[8:9], v[18:19] offset1:2
.LBB0_29:
	s_wait_alu 0xfffe
	s_or_b32 exec_lo, exec_lo, s0
	v_add_nc_u32_e32 v2, 0x1200, v62
	global_wb scope:SCOPE_SE
	s_wait_dscnt 0x0
	s_barrier_signal -1
	s_barrier_wait -1
	global_inv scope:SCOPE_SE
	ds_load_2addr_b64 v[4:7], v2 offset0:40 offset1:216
	ds_load_b64 v[26:27], v63
	ds_load_b64 v[36:37], v62 offset:7744
	ds_load_b64 v[30:31], v62
	ds_load_b64 v[28:29], v64
	s_and_saveexec_b32 s0, s1
	s_cbranch_execz .LBB0_31
; %bb.30:
	ds_load_b64 v[8:9], v62 offset:4224
	ds_load_b64 v[18:19], v62 offset:9152
.LBB0_31:
	s_wait_alu 0xfffe
	s_or_b32 exec_lo, exec_lo, s0
	v_and_b32_e32 v48, 3, v61
	s_delay_alu instid0(VALU_DEP_1)
	v_lshlrev_b32_e32 v2, 4, v48
	global_load_b128 v[14:17], v2, s[4:5] offset:32
	global_wb scope:SCOPE_SE
	s_wait_loadcnt_dscnt 0x0
	s_barrier_signal -1
	s_barrier_wait -1
	global_inv scope:SCOPE_SE
	v_mul_f64_e32 v[2:3], v[4:5], v[16:17]
	v_mul_f64_e32 v[32:33], v[36:37], v[16:17]
	;; [unrolled: 1-line block ×4, first 2 shown]
	s_delay_alu instid0(VALU_DEP_4) | instskip(NEXT) | instid1(VALU_DEP_4)
	v_fma_f64 v[2:3], v[10:11], v[14:15], v[2:3]
	v_fma_f64 v[32:33], v[24:25], v[14:15], v[32:33]
	s_delay_alu instid0(VALU_DEP_4) | instskip(NEXT) | instid1(VALU_DEP_4)
	v_fma_f64 v[34:35], v[22:23], v[14:15], v[34:35]
	v_fma_f64 v[20:21], v[12:13], v[14:15], v[20:21]
	s_delay_alu instid0(VALU_DEP_4) | instskip(NEXT) | instid1(VALU_DEP_4)
	v_add_f64_e64 v[2:3], v[46:47], -v[2:3]
	v_add_f64_e64 v[49:50], v[44:45], -v[32:33]
	s_delay_alu instid0(VALU_DEP_4) | instskip(NEXT) | instid1(VALU_DEP_4)
	v_add_f64_e64 v[32:33], v[0:1], -v[34:35]
	v_add_f64_e64 v[38:39], v[42:43], -v[20:21]
	s_delay_alu instid0(VALU_DEP_4) | instskip(NEXT) | instid1(VALU_DEP_4)
	v_fma_f64 v[34:35], v[46:47], 2.0, -v[2:3]
	v_fma_f64 v[51:52], v[44:45], 2.0, -v[49:50]
	s_delay_alu instid0(VALU_DEP_4) | instskip(NEXT) | instid1(VALU_DEP_4)
	v_fma_f64 v[20:21], v[0:1], 2.0, -v[32:33]
	v_fma_f64 v[46:47], v[42:43], 2.0, -v[38:39]
	v_and_or_b32 v0, 0x1f8, v59, v48
	v_and_or_b32 v1, 0x3f8, v57, v48
	;; [unrolled: 1-line block ×3, first 2 shown]
	s_delay_alu instid0(VALU_DEP_3) | instskip(NEXT) | instid1(VALU_DEP_3)
	v_lshl_add_u32 v42, v0, 3, 0
	v_lshl_add_u32 v43, v1, 3, 0
	s_delay_alu instid0(VALU_DEP_3)
	v_lshl_add_u32 v44, v44, 3, 0
	ds_store_2addr_b64 v42, v[34:35], v[2:3] offset1:4
	ds_store_2addr_b64 v43, v[46:47], v[38:39] offset1:4
	;; [unrolled: 1-line block ×3, first 2 shown]
	s_and_saveexec_b32 s0, s1
	s_cbranch_execz .LBB0_33
; %bb.32:
	v_and_or_b32 v0, 0x5f8, v58, v48
	s_delay_alu instid0(VALU_DEP_1)
	v_lshl_add_u32 v0, v0, 3, 0
	ds_store_2addr_b64 v0, v[20:21], v[32:33] offset1:4
.LBB0_33:
	s_wait_alu 0xfffe
	s_or_b32 exec_lo, exec_lo, s0
	v_add_nc_u32_e32 v0, 0x1200, v62
	global_wb scope:SCOPE_SE
	s_wait_dscnt 0x0
	s_barrier_signal -1
	s_barrier_wait -1
	global_inv scope:SCOPE_SE
	ds_load_2addr_b64 v[0:3], v0 offset0:40 offset1:216
	ds_load_b64 v[50:51], v63
	ds_load_b64 v[34:35], v62 offset:7744
	ds_load_b64 v[54:55], v62
	ds_load_b64 v[52:53], v64
	v_lshl_add_u32 v65, v61, 3, 0
	s_and_saveexec_b32 s0, s1
	s_cbranch_execz .LBB0_35
; %bb.34:
	ds_load_b64 v[20:21], v65 offset:4224
	ds_load_b64 v[32:33], v62 offset:9152
.LBB0_35:
	s_wait_alu 0xfffe
	s_or_b32 exec_lo, exec_lo, s0
	v_mul_f64_e32 v[10:11], v[10:11], v[16:17]
	v_mul_f64_e32 v[12:13], v[12:13], v[16:17]
	;; [unrolled: 1-line block ×4, first 2 shown]
	global_wb scope:SCOPE_SE
	s_wait_dscnt 0x0
	s_barrier_signal -1
	s_barrier_wait -1
	global_inv scope:SCOPE_SE
	v_fma_f64 v[4:5], v[4:5], v[14:15], -v[10:11]
	v_fma_f64 v[6:7], v[6:7], v[14:15], -v[12:13]
	;; [unrolled: 1-line block ×4, first 2 shown]
	s_delay_alu instid0(VALU_DEP_4) | instskip(NEXT) | instid1(VALU_DEP_4)
	v_add_f64_e64 v[4:5], v[30:31], -v[4:5]
	v_add_f64_e64 v[6:7], v[26:27], -v[6:7]
	s_delay_alu instid0(VALU_DEP_4) | instskip(NEXT) | instid1(VALU_DEP_4)
	v_add_f64_e64 v[10:11], v[28:29], -v[10:11]
	v_add_f64_e64 v[38:39], v[8:9], -v[12:13]
	s_delay_alu instid0(VALU_DEP_4) | instskip(NEXT) | instid1(VALU_DEP_4)
	v_fma_f64 v[12:13], v[30:31], 2.0, -v[4:5]
	v_fma_f64 v[14:15], v[26:27], 2.0, -v[6:7]
	s_delay_alu instid0(VALU_DEP_4) | instskip(NEXT) | instid1(VALU_DEP_4)
	v_fma_f64 v[16:17], v[28:29], 2.0, -v[10:11]
	v_fma_f64 v[36:37], v[8:9], 2.0, -v[38:39]
	ds_store_2addr_b64 v42, v[12:13], v[4:5] offset1:4
	ds_store_2addr_b64 v43, v[14:15], v[6:7] offset1:4
	;; [unrolled: 1-line block ×3, first 2 shown]
	s_and_saveexec_b32 s0, s1
	s_cbranch_execz .LBB0_37
; %bb.36:
	v_and_or_b32 v4, 0x5f8, v58, v48
	s_delay_alu instid0(VALU_DEP_1)
	v_lshl_add_u32 v4, v4, 3, 0
	ds_store_2addr_b64 v4, v[36:37], v[38:39] offset1:4
.LBB0_37:
	s_wait_alu 0xfffe
	s_or_b32 exec_lo, exec_lo, s0
	v_add_nc_u32_e32 v4, 0x1200, v62
	global_wb scope:SCOPE_SE
	s_wait_dscnt 0x0
	s_barrier_signal -1
	s_barrier_wait -1
	global_inv scope:SCOPE_SE
	ds_load_2addr_b64 v[24:27], v4 offset0:40 offset1:216
	ds_load_b64 v[42:43], v63
	ds_load_b64 v[48:49], v62 offset:7744
	ds_load_b64 v[46:47], v62
	ds_load_b64 v[44:45], v64
	s_and_saveexec_b32 s0, s1
	s_cbranch_execz .LBB0_39
; %bb.38:
	ds_load_b64 v[36:37], v65 offset:4224
	ds_load_b64 v[38:39], v62 offset:9152
.LBB0_39:
	s_wait_alu 0xfffe
	s_or_b32 exec_lo, exec_lo, s0
	v_and_b32_e32 v66, 7, v61
	s_delay_alu instid0(VALU_DEP_1)
	v_lshlrev_b32_e32 v4, 4, v66
	v_and_or_b32 v22, 0x7f0, v56, v66
	global_load_b128 v[28:31], v4, s[4:5] offset:96
	global_wb scope:SCOPE_SE
	s_wait_loadcnt_dscnt 0x0
	s_barrier_signal -1
	s_barrier_wait -1
	global_inv scope:SCOPE_SE
	v_mul_f64_e32 v[4:5], v[24:25], v[30:31]
	v_mul_f64_e32 v[6:7], v[26:27], v[30:31]
	;; [unrolled: 1-line block ×4, first 2 shown]
	s_delay_alu instid0(VALU_DEP_4) | instskip(NEXT) | instid1(VALU_DEP_4)
	v_fma_f64 v[4:5], v[0:1], v[28:29], v[4:5]
	v_fma_f64 v[12:13], v[2:3], v[28:29], v[6:7]
	s_delay_alu instid0(VALU_DEP_4) | instskip(NEXT) | instid1(VALU_DEP_4)
	v_fma_f64 v[8:9], v[34:35], v[28:29], v[8:9]
	v_fma_f64 v[10:11], v[32:33], v[28:29], v[10:11]
	s_delay_alu instid0(VALU_DEP_4) | instskip(NEXT) | instid1(VALU_DEP_4)
	v_add_f64_e64 v[6:7], v[54:55], -v[4:5]
	v_add_f64_e64 v[18:19], v[50:51], -v[12:13]
	s_delay_alu instid0(VALU_DEP_4) | instskip(NEXT) | instid1(VALU_DEP_4)
	v_add_f64_e64 v[14:15], v[52:53], -v[8:9]
	v_add_f64_e64 v[10:11], v[20:21], -v[10:11]
	s_delay_alu instid0(VALU_DEP_4) | instskip(NEXT) | instid1(VALU_DEP_4)
	v_fma_f64 v[4:5], v[54:55], 2.0, -v[6:7]
	v_fma_f64 v[16:17], v[50:51], 2.0, -v[18:19]
	s_delay_alu instid0(VALU_DEP_4) | instskip(NEXT) | instid1(VALU_DEP_4)
	v_fma_f64 v[12:13], v[52:53], 2.0, -v[14:15]
	v_fma_f64 v[8:9], v[20:21], 2.0, -v[10:11]
	v_and_or_b32 v20, 0x1f0, v59, v66
	v_and_or_b32 v21, 0x3f0, v57, v66
	v_lshl_add_u32 v52, v22, 3, 0
	s_delay_alu instid0(VALU_DEP_3) | instskip(NEXT) | instid1(VALU_DEP_3)
	v_lshl_add_u32 v50, v20, 3, 0
	v_lshl_add_u32 v51, v21, 3, 0
	ds_store_2addr_b64 v50, v[4:5], v[6:7] offset1:8
	ds_store_2addr_b64 v51, v[16:17], v[18:19] offset1:8
	;; [unrolled: 1-line block ×3, first 2 shown]
	s_and_saveexec_b32 s0, s1
	s_cbranch_execz .LBB0_41
; %bb.40:
	v_and_or_b32 v20, 0x5f0, v58, v66
	s_delay_alu instid0(VALU_DEP_1)
	v_lshl_add_u32 v20, v20, 3, 0
	ds_store_2addr_b64 v20, v[8:9], v[10:11] offset1:8
.LBB0_41:
	s_wait_alu 0xfffe
	s_or_b32 exec_lo, exec_lo, s0
	v_cmp_gt_u32_e64 s0, 0x70, v61
	global_wb scope:SCOPE_SE
	s_wait_dscnt 0x0
	s_barrier_signal -1
	s_barrier_wait -1
	global_inv scope:SCOPE_SE
                                        ; implicit-def: $vgpr22_vgpr23
                                        ; implicit-def: $vgpr56_vgpr57
	s_and_saveexec_b32 s2, s0
	s_cbranch_execz .LBB0_43
; %bb.42:
	v_add_nc_u32_e32 v8, 0x400, v62
	v_add_nc_u32_e32 v9, 0xc00, v62
	;; [unrolled: 1-line block ×4, first 2 shown]
	ds_load_2addr_b64 v[4:7], v62 offset1:112
	ds_load_2addr_b64 v[16:19], v8 offset0:96 offset1:208
	ds_load_2addr_b64 v[12:15], v9 offset0:64 offset1:176
	;; [unrolled: 1-line block ×3, first 2 shown]
	ds_load_b64 v[56:57], v65 offset:7168
	ds_load_2addr_b64 v[20:23], v20 offset0:112 offset1:224
.LBB0_43:
	s_wait_alu 0xfffe
	s_or_b32 exec_lo, exec_lo, s2
	v_mul_f64_e32 v[0:1], v[0:1], v[30:31]
	v_mul_f64_e32 v[2:3], v[2:3], v[30:31]
	;; [unrolled: 1-line block ×4, first 2 shown]
	global_wb scope:SCOPE_SE
	s_wait_dscnt 0x0
	s_barrier_signal -1
	s_barrier_wait -1
	global_inv scope:SCOPE_SE
	v_fma_f64 v[0:1], v[24:25], v[28:29], -v[0:1]
	v_fma_f64 v[24:25], v[26:27], v[28:29], -v[2:3]
	;; [unrolled: 1-line block ×4, first 2 shown]
	s_delay_alu instid0(VALU_DEP_4) | instskip(NEXT) | instid1(VALU_DEP_4)
	v_add_f64_e64 v[2:3], v[46:47], -v[0:1]
	v_add_f64_e64 v[34:35], v[42:43], -v[24:25]
	s_delay_alu instid0(VALU_DEP_4) | instskip(NEXT) | instid1(VALU_DEP_4)
	v_add_f64_e64 v[30:31], v[44:45], -v[26:27]
	v_add_f64_e64 v[26:27], v[36:37], -v[28:29]
	s_delay_alu instid0(VALU_DEP_4) | instskip(NEXT) | instid1(VALU_DEP_4)
	v_fma_f64 v[0:1], v[46:47], 2.0, -v[2:3]
	v_fma_f64 v[32:33], v[42:43], 2.0, -v[34:35]
	s_delay_alu instid0(VALU_DEP_4) | instskip(NEXT) | instid1(VALU_DEP_4)
	v_fma_f64 v[28:29], v[44:45], 2.0, -v[30:31]
	v_fma_f64 v[24:25], v[36:37], 2.0, -v[26:27]
	ds_store_2addr_b64 v50, v[0:1], v[2:3] offset1:8
	ds_store_2addr_b64 v51, v[32:33], v[34:35] offset1:8
	ds_store_2addr_b64 v52, v[28:29], v[30:31] offset1:8
	s_and_saveexec_b32 s2, s1
	s_cbranch_execz .LBB0_45
; %bb.44:
	v_and_or_b32 v36, 0x5f0, v58, v66
	s_delay_alu instid0(VALU_DEP_1)
	v_lshl_add_u32 v36, v36, 3, 0
	ds_store_2addr_b64 v36, v[24:25], v[26:27] offset1:8
.LBB0_45:
	s_wait_alu 0xfffe
	s_or_b32 exec_lo, exec_lo, s2
	global_wb scope:SCOPE_SE
	s_wait_dscnt 0x0
	s_barrier_signal -1
	s_barrier_wait -1
	global_inv scope:SCOPE_SE
                                        ; implicit-def: $vgpr38_vgpr39
                                        ; implicit-def: $vgpr58_vgpr59
	s_and_saveexec_b32 s1, s0
	s_cbranch_execz .LBB0_47
; %bb.46:
	v_add_nc_u32_e32 v24, 0x400, v62
	v_add_nc_u32_e32 v25, 0xc00, v62
	;; [unrolled: 1-line block ×4, first 2 shown]
	ds_load_2addr_b64 v[0:3], v62 offset1:112
	ds_load_2addr_b64 v[32:35], v24 offset0:96 offset1:208
	ds_load_2addr_b64 v[28:31], v25 offset0:64 offset1:176
	;; [unrolled: 1-line block ×3, first 2 shown]
	ds_load_b64 v[58:59], v65 offset:7168
	ds_load_2addr_b64 v[36:39], v36 offset0:112 offset1:224
.LBB0_47:
	s_wait_alu 0xfffe
	s_or_b32 exec_lo, exec_lo, s1
	v_and_b32_e32 v66, 15, v61
	s_delay_alu instid0(VALU_DEP_1) | instskip(NEXT) | instid1(VALU_DEP_1)
	v_mul_u32_u24_e32 v42, 10, v66
	v_lshlrev_b32_e32 v46, 4, v42
	s_clause 0x9
	global_load_b128 v[42:45], v46, s[4:5] offset:240
	global_load_b128 v[48:51], v46, s[4:5] offset:256
	;; [unrolled: 1-line block ×10, first 2 shown]
	global_wb scope:SCOPE_SE
	s_wait_loadcnt_dscnt 0x0
	s_barrier_signal -1
	s_barrier_wait -1
	global_inv scope:SCOPE_SE
	v_mul_f64_e32 v[46:47], v[32:33], v[44:45]
	v_mul_f64_e32 v[44:45], v[16:17], v[44:45]
	;; [unrolled: 1-line block ×20, first 2 shown]
	v_fma_f64 v[46:47], v[16:17], v[42:43], v[46:47]
	v_fma_f64 v[50:51], v[32:33], v[42:43], -v[44:45]
	v_fma_f64 v[44:45], v[18:19], v[48:49], v[95:96]
	v_fma_f64 v[48:49], v[34:35], v[48:49], -v[97:98]
	;; [unrolled: 2-line block ×10, first 2 shown]
	v_lshrrev_b32_e32 v58, 4, v61
	s_and_saveexec_b32 s1, s0
	s_cbranch_execz .LBB0_49
; %bb.48:
	v_add_f64_e32 v[2:3], v[4:5], v[52:53]
	s_delay_alu instid0(VALU_DEP_3)
	v_add_f64_e64 v[6:7], v[54:55], -v[10:11]
	v_add_f64_e64 v[8:9], v[42:43], -v[24:25]
	;; [unrolled: 1-line block ×4, first 2 shown]
	s_mov_b32 s18, 0xfd768dbf
	s_mov_b32 s24, 0xbb3a28a1
	;; [unrolled: 1-line block ×6, first 2 shown]
	v_add_f64_e64 v[56:57], v[50:51], -v[12:13]
	s_mov_b32 s22, 0x43842ef
	s_mov_b32 s20, 0xf8bb580b
	v_add_f64_e32 v[67:68], v[52:53], v[22:23]
	s_mov_b32 s23, 0xbfefac9e
	s_mov_b32 s21, 0x3fe14ced
	;; [unrolled: 1-line block ×3, first 2 shown]
	s_wait_alu 0xfffe
	s_mov_b32 s26, s20
	s_mov_b32 s2, 0x9bcd5057
	;; [unrolled: 1-line block ×13, first 2 shown]
	v_add_f64_e32 v[83:84], v[46:47], v[20:21]
	v_add_f64_e32 v[2:3], v[2:3], v[46:47]
	v_mul_f64_e32 v[69:70], s[18:19], v[6:7]
	v_mul_f64_e32 v[71:72], s[16:17], v[8:9]
	;; [unrolled: 1-line block ×5, first 2 shown]
	s_mov_b32 s17, 0xbfed1bb4
	v_mul_f64_e32 v[79:80], s[22:23], v[6:7]
	s_wait_alu 0xfffe
	v_mul_f64_e32 v[81:82], s[26:27], v[6:7]
	v_mul_f64_e32 v[6:7], s[16:17], v[6:7]
	;; [unrolled: 1-line block ×8, first 2 shown]
	s_mov_b32 s16, 0x8764f0ba
	s_mov_b32 s17, 0x3feaeb8c
	v_mul_f64_e32 v[105:106], s[26:27], v[38:39]
	v_mul_f64_e32 v[107:108], s[30:31], v[38:39]
	;; [unrolled: 1-line block ×5, first 2 shown]
	v_add_f64_e32 v[2:3], v[2:3], v[44:45]
	v_fma_f64 v[93:94], v[67:68], s[2:3], -v[69:70]
	v_fma_f64 v[69:70], v[67:68], s[2:3], v[69:70]
	v_fma_f64 v[95:96], v[67:68], s[14:15], -v[75:76]
	v_fma_f64 v[75:76], v[67:68], s[14:15], v[75:76]
	;; [unrolled: 2-line block ×3, first 2 shown]
	s_wait_alu 0xfffe
	v_fma_f64 v[99:100], v[67:68], s[16:17], v[81:82]
	v_fma_f64 v[101:102], v[67:68], s[6:7], v[6:7]
	v_fma_f64 v[6:7], v[67:68], s[6:7], -v[6:7]
	v_fma_f64 v[67:68], v[67:68], s[16:17], -v[81:82]
	v_add_f64_e32 v[81:82], v[44:45], v[26:27]
	v_fma_f64 v[109:110], v[83:84], s[16:17], -v[85:86]
	v_fma_f64 v[85:86], v[83:84], s[16:17], v[85:86]
	v_fma_f64 v[111:112], v[83:84], s[12:13], -v[87:88]
	v_fma_f64 v[87:88], v[83:84], s[12:13], v[87:88]
	v_fma_f64 v[113:114], v[83:84], s[2:3], -v[89:90]
	v_fma_f64 v[89:90], v[83:84], s[2:3], v[89:90]
	v_fma_f64 v[115:116], v[83:84], s[14:15], -v[91:92]
	v_fma_f64 v[91:92], v[83:84], s[14:15], v[91:92]
	v_fma_f64 v[117:118], v[83:84], s[6:7], -v[56:57]
	v_fma_f64 v[56:57], v[83:84], s[6:7], v[56:57]
	v_add_f64_e32 v[2:3], v[2:3], v[32:33]
	v_add_f64_e32 v[83:84], v[4:5], v[93:94]
	;; [unrolled: 1-line block ×12, first 2 shown]
	v_mul_f64_e32 v[101:102], s[18:19], v[8:9]
	v_mul_f64_e32 v[8:9], s[24:25], v[8:9]
	v_fma_f64 v[123:124], v[81:82], s[14:15], -v[103:104]
	v_fma_f64 v[103:104], v[81:82], s[14:15], v[103:104]
	v_fma_f64 v[125:126], v[81:82], s[16:17], -v[105:106]
	v_fma_f64 v[105:106], v[81:82], s[16:17], v[105:106]
	;; [unrolled: 2-line block ×5, first 2 shown]
	v_add_f64_e32 v[2:3], v[2:3], v[16:17]
	v_add_f64_e32 v[81:82], v[109:110], v[83:84]
	;; [unrolled: 1-line block ×5, first 2 shown]
	v_mul_f64_e32 v[93:94], s[24:25], v[36:37]
	v_add_f64_e32 v[85:86], v[113:114], v[95:96]
	v_add_f64_e32 v[79:80], v[89:90], v[79:80]
	;; [unrolled: 1-line block ×7, first 2 shown]
	v_mul_f64_e32 v[91:92], s[22:23], v[36:37]
	v_fma_f64 v[97:98], v[67:68], s[6:7], -v[71:72]
	v_fma_f64 v[71:72], v[67:68], s[6:7], v[71:72]
	v_fma_f64 v[99:100], v[67:68], s[2:3], -v[101:102]
	v_fma_f64 v[101:102], v[67:68], s[2:3], v[101:102]
	v_fma_f64 v[109:110], v[67:68], s[16:17], -v[119:120]
	v_fma_f64 v[111:112], v[67:68], s[16:17], v[119:120]
	v_fma_f64 v[113:114], v[67:68], s[12:13], -v[121:122]
	v_fma_f64 v[115:116], v[67:68], s[12:13], v[121:122]
	v_fma_f64 v[117:118], v[67:68], s[14:15], -v[8:9]
	v_fma_f64 v[8:9], v[67:68], s[14:15], v[8:9]
	v_mul_f64_e32 v[95:96], s[20:21], v[36:37]
	v_mul_f64_e32 v[36:37], s[18:19], v[36:37]
	v_add_f64_e32 v[2:3], v[2:3], v[18:19]
	v_add_f64_e32 v[67:68], v[123:124], v[81:82]
	;; [unrolled: 1-line block ×11, first 2 shown]
	v_fma_f64 v[87:88], v[89:90], s[6:7], -v[73:74]
	v_fma_f64 v[79:80], v[89:90], s[12:13], -v[91:92]
	v_fma_f64 v[85:86], v[89:90], s[12:13], v[91:92]
	v_fma_f64 v[73:74], v[89:90], s[6:7], v[73:74]
	v_fma_f64 v[91:92], v[89:90], s[14:15], -v[93:94]
	v_fma_f64 v[93:94], v[89:90], s[14:15], v[93:94]
	v_fma_f64 v[103:104], v[89:90], s[16:17], -v[95:96]
	;; [unrolled: 2-line block ×3, first 2 shown]
	v_fma_f64 v[36:37], v[89:90], s[2:3], v[36:37]
	v_add_f64_e32 v[2:3], v[2:3], v[34:35]
	v_add_f64_e32 v[67:68], v[97:98], v[67:68]
	;; [unrolled: 1-line block ×22, first 2 shown]
	v_mul_u32_u24_e32 v38, 0xb0, v58
	s_delay_alu instid0(VALU_DEP_1) | instskip(NEXT) | instid1(VALU_DEP_1)
	v_or_b32_e32 v38, v38, v66
	v_lshl_add_u32 v38, v38, 3, 0
	v_add_f64_e32 v[2:3], v[2:3], v[20:21]
	s_delay_alu instid0(VALU_DEP_1)
	v_add_f64_e32 v[2:3], v[2:3], v[22:23]
	ds_store_2addr_b64 v38, v[71:72], v[67:68] offset0:64 offset1:80
	ds_store_2addr_b64 v38, v[56:57], v[69:70] offset0:96 offset1:112
	;; [unrolled: 1-line block ×4, first 2 shown]
	ds_store_2addr_b64 v38, v[2:3], v[8:9] offset1:16
	ds_store_b64 v38, v[4:5] offset:1280
.LBB0_49:
	s_wait_alu 0xfffe
	s_or_b32 exec_lo, exec_lo, s1
	v_add_nc_u32_e32 v6, 0x1a00, v62
	global_wb scope:SCOPE_SE
	s_wait_dscnt 0x0
	s_barrier_signal -1
	s_barrier_wait -1
	global_inv scope:SCOPE_SE
	ds_load_2addr_stride64_b64 v[2:5], v62 offset1:11
	ds_load_b64 v[38:39], v63
	ds_load_b64 v[56:57], v64
	ds_load_b64 v[36:37], v65 offset:4224
	ds_load_2addr_b64 v[6:9], v6 offset0:48 offset1:224
	global_wb scope:SCOPE_SE
	s_wait_dscnt 0x0
	s_barrier_signal -1
	s_barrier_wait -1
	global_inv scope:SCOPE_SE
	s_and_saveexec_b32 s33, s0
	s_cbranch_execz .LBB0_51
; %bb.50:
	v_add_f64_e32 v[67:68], v[0:1], v[54:55]
	v_add_f64_e32 v[54:55], v[54:55], v[10:11]
	s_mov_b32 s28, 0x8764f0ba
	s_mov_b32 s24, 0xd9c712b6
	s_mov_b32 s22, 0x640f44db
	s_mov_b32 s29, 0x3feaeb8c
	s_mov_b32 s25, 0x3fda9628
	s_mov_b32 s23, 0xbfc2375f
	s_mov_b32 s26, 0x7f775887
	s_mov_b32 s36, 0x9bcd5057
	s_mov_b32 s27, 0xbfe4f49e
	s_mov_b32 s37, 0xbfeeb42a
	v_add_f64_e64 v[22:23], v[52:53], -v[22:23]
	s_mov_b32 s12, 0xf8bb580b
	s_mov_b32 s0, 0x8eee2c13
	;; [unrolled: 1-line block ×9, first 2 shown]
	s_wait_alu 0xfffe
	s_mov_b32 s14, s0
	s_mov_b32 s19, 0x3fe82f19
	;; [unrolled: 1-line block ×6, first 2 shown]
	v_add_f64_e64 v[20:21], v[46:47], -v[20:21]
	s_mov_b32 s34, s30
	s_mov_b32 s3, 0xbfefac9e
	;; [unrolled: 1-line block ×5, first 2 shown]
	v_add_f64_e64 v[26:27], v[44:45], -v[26:27]
	v_add_f64_e64 v[16:17], v[16:17], -v[18:19]
	v_add_f64_e32 v[67:68], v[67:68], v[50:51]
	v_add_f64_e32 v[50:51], v[50:51], v[12:13]
	v_mul_f64_e32 v[52:53], s[28:29], v[54:55]
	v_mul_f64_e32 v[69:70], s[24:25], v[54:55]
	;; [unrolled: 1-line block ×5, first 2 shown]
	v_add_f64_e32 v[67:68], v[67:68], v[48:49]
	v_add_f64_e32 v[48:49], v[48:49], v[14:15]
	v_mul_f64_e32 v[46:47], s[24:25], v[50:51]
	v_mul_f64_e32 v[75:76], s[26:27], v[50:51]
	;; [unrolled: 1-line block ×5, first 2 shown]
	v_fma_f64 v[81:82], v[22:23], s[12:13], v[52:53]
	v_fma_f64 v[83:84], v[22:23], s[0:1], v[69:70]
	s_wait_alu 0xfffe
	v_fma_f64 v[69:70], v[22:23], s[14:15], v[69:70]
	v_fma_f64 v[85:86], v[22:23], s[6:7], v[71:72]
	;; [unrolled: 1-line block ×8, first 2 shown]
	v_add_f64_e32 v[67:68], v[67:68], v[42:43]
	v_add_f64_e32 v[42:43], v[42:43], v[24:25]
	v_mul_f64_e32 v[44:45], s[22:23], v[48:49]
	v_mul_f64_e32 v[52:53], s[36:37], v[48:49]
	;; [unrolled: 1-line block ×5, first 2 shown]
	v_fma_f64 v[95:96], v[20:21], s[0:1], v[46:47]
	v_fma_f64 v[46:47], v[20:21], s[14:15], v[46:47]
	;; [unrolled: 1-line block ×10, first 2 shown]
	v_add_f64_e32 v[50:51], v[0:1], v[81:82]
	v_add_f64_e32 v[81:82], v[0:1], v[83:84]
	;; [unrolled: 1-line block ×10, first 2 shown]
	v_add_f64_e64 v[22:23], v[32:33], -v[34:35]
	v_add_f64_e32 v[67:68], v[67:68], v[28:29]
	v_add_f64_e32 v[28:29], v[28:29], v[30:31]
	v_mul_f64_e32 v[32:33], s[22:23], v[42:43]
	v_mul_f64_e32 v[34:35], s[28:29], v[42:43]
	;; [unrolled: 1-line block ×3, first 2 shown]
	v_fma_f64 v[105:106], v[26:27], s[6:7], v[44:45]
	v_fma_f64 v[44:45], v[26:27], s[2:3], v[44:45]
	;; [unrolled: 1-line block ×10, first 2 shown]
	v_add_f64_e32 v[48:49], v[95:96], v[50:51]
	v_add_f64_e32 v[50:51], v[97:98], v[81:82]
	;; [unrolled: 1-line block ×11, first 2 shown]
	v_mul_f64_e32 v[30:31], s[26:27], v[42:43]
	v_mul_f64_e32 v[42:43], s[24:25], v[42:43]
	;; [unrolled: 1-line block ×5, first 2 shown]
	v_fma_f64 v[83:84], v[22:23], s[2:3], v[32:33]
	v_fma_f64 v[32:33], v[22:23], s[6:7], v[32:33]
	;; [unrolled: 1-line block ×6, first 2 shown]
	v_add_f64_e32 v[73:74], v[93:94], v[73:74]
	v_add_f64_e32 v[20:21], v[26:27], v[20:21]
	v_add_f64_e32 v[26:27], v[91:92], v[54:55]
	v_add_f64_e32 v[0:1], v[44:45], v[0:1]
	v_add_f64_e32 v[24:25], v[67:68], v[24:25]
	v_mul_f64_e32 v[67:68], s[26:27], v[28:29]
	v_mul_f64_e32 v[28:29], s[22:23], v[28:29]
	v_fma_f64 v[77:78], v[22:23], s[18:19], v[30:31]
	v_fma_f64 v[30:31], v[22:23], s[20:21], v[30:31]
	;; [unrolled: 1-line block ×4, first 2 shown]
	v_add_f64_e32 v[42:43], v[105:106], v[48:49]
	v_add_f64_e32 v[48:49], v[107:108], v[50:51]
	;; [unrolled: 1-line block ×6, first 2 shown]
	v_fma_f64 v[44:45], v[16:17], s[16:17], v[46:47]
	v_fma_f64 v[46:47], v[16:17], s[12:13], v[46:47]
	;; [unrolled: 1-line block ×4, first 2 shown]
	v_add_f64_e32 v[14:15], v[24:25], v[14:15]
	v_fma_f64 v[24:25], v[16:17], s[30:31], v[18:19]
	v_fma_f64 v[18:19], v[16:17], s[34:35], v[18:19]
	;; [unrolled: 1-line block ×6, first 2 shown]
	v_add_f64_e32 v[28:29], v[77:78], v[42:43]
	v_add_f64_e32 v[42:43], v[83:84], v[48:49]
	v_add_f64_e32 v[32:33], v[32:33], v[50:51]
	v_add_f64_e32 v[48:49], v[85:86], v[52:53]
	v_add_f64_e32 v[50:51], v[87:88], v[69:70]
	v_add_f64_e32 v[69:70], v[95:96], v[75:76]
	v_add_f64_e32 v[52:53], v[89:90], v[73:74]
	v_add_f64_e32 v[20:21], v[22:23], v[20:21]
	v_add_f64_e32 v[22:23], v[34:35], v[26:27]
	v_add_f64_e32 v[0:1], v[30:31], v[0:1]
	v_add_f64_e32 v[12:13], v[14:15], v[12:13]
	v_add_f64_e32 v[14:15], v[24:25], v[28:29]
	v_add_f64_e32 v[24:25], v[44:45], v[42:43]
	v_add_f64_e32 v[26:27], v[46:47], v[32:33]
	v_add_f64_e32 v[28:29], v[54:55], v[48:49]
	v_add_f64_e32 v[30:31], v[79:80], v[50:51]
	v_add_f64_e32 v[34:35], v[81:82], v[69:70]
	v_add_f64_e32 v[32:33], v[71:72], v[52:53]
	v_add_f64_e32 v[16:17], v[16:17], v[20:21]
	v_add_f64_e32 v[20:21], v[67:68], v[22:23]
	v_add_f64_e32 v[0:1], v[18:19], v[0:1]
	v_add_f64_e32 v[10:11], v[12:13], v[10:11]
	v_mul_u32_u24_e32 v12, 0xb0, v58
	s_delay_alu instid0(VALU_DEP_1) | instskip(NEXT) | instid1(VALU_DEP_1)
	v_or_b32_e32 v12, v12, v66
	v_lshl_add_u32 v12, v12, 3, 0
	ds_store_2addr_b64 v12, v[24:25], v[28:29] offset0:32 offset1:48
	ds_store_2addr_b64 v12, v[30:31], v[34:35] offset0:64 offset1:80
	;; [unrolled: 1-line block ×4, first 2 shown]
	ds_store_2addr_b64 v12, v[10:11], v[14:15] offset1:16
	ds_store_b64 v12, v[0:1] offset:1280
.LBB0_51:
	s_or_b32 exec_lo, exec_lo, s33
	global_wb scope:SCOPE_SE
	s_wait_dscnt 0x0
	s_barrier_signal -1
	s_barrier_wait -1
	global_inv scope:SCOPE_SE
	s_and_saveexec_b32 s0, vcc_lo
	s_cbranch_execz .LBB0_53
; %bb.52:
	v_mul_u32_u24_e32 v0, 6, v61
	s_mov_b32 s0, 0xe976ee23
	s_mov_b32 s1, 0x3fe11646
	;; [unrolled: 1-line block ×4, first 2 shown]
	v_lshlrev_b32_e32 v0, 4, v0
	s_mov_b32 s7, 0xbfd5d0dc
	s_mov_b32 s6, 0xb247c609
	;; [unrolled: 1-line block ×4, first 2 shown]
	s_clause 0x5
	global_load_b128 v[10:13], v0, s[4:5] offset:2800
	global_load_b128 v[14:17], v0, s[4:5] offset:2848
	;; [unrolled: 1-line block ×6, first 2 shown]
	s_mov_b32 s4, 0x429ad128
	s_mov_b32 s5, 0xbfebfeb5
	;; [unrolled: 1-line block ×4, first 2 shown]
	v_add_nc_u32_e32 v66, 0x420, v60
	s_wait_loadcnt 0x5
	v_mul_f64_e32 v[0:1], v[56:57], v[12:13]
	s_wait_loadcnt 0x4
	v_mul_f64_e32 v[34:35], v[6:7], v[16:17]
	;; [unrolled: 2-line block ×4, first 2 shown]
	v_mul_f64_e32 v[46:47], v[56:57], v[10:11]
	v_mul_f64_e32 v[48:49], v[6:7], v[14:15]
	;; [unrolled: 1-line block ×4, first 2 shown]
	v_add_nc_u32_e32 v6, 0x1a00, v62
	ds_load_b64 v[52:53], v64
	ds_load_2addr_b64 v[6:9], v6 offset0:48 offset1:224
	ds_load_b64 v[54:55], v63
	s_wait_loadcnt 0x1
	v_mul_f64_e32 v[56:57], v[4:5], v[26:27]
	s_wait_loadcnt 0x0
	v_mul_f64_e32 v[58:59], v[36:37], v[30:31]
	v_mul_f64_e32 v[63:64], v[36:37], v[32:33]
	;; [unrolled: 1-line block ×3, first 2 shown]
	s_wait_dscnt 0x2
	v_fma_f64 v[0:1], v[52:53], v[10:11], -v[0:1]
	s_wait_dscnt 0x1
	v_fma_f64 v[10:11], v[6:7], v[14:15], -v[34:35]
	s_wait_dscnt 0x0
	v_fma_f64 v[14:15], v[54:55], v[18:19], -v[42:43]
	v_fma_f64 v[18:19], v[8:9], v[22:23], -v[44:45]
	v_fma_f64 v[12:13], v[52:53], v[12:13], v[46:47]
	v_fma_f64 v[6:7], v[6:7], v[16:17], v[48:49]
	;; [unrolled: 1-line block ×4, first 2 shown]
	ds_load_2addr_stride64_b64 v[34:37], v62 offset1:11
	ds_load_b64 v[20:21], v65 offset:4224
	v_add_nc_u32_e32 v65, 0x370, v60
	s_wait_dscnt 0x1
	v_fma_f64 v[22:23], v[36:37], v[28:29], v[56:57]
	s_wait_dscnt 0x0
	v_fma_f64 v[24:25], v[20:21], v[32:33], v[58:59]
	v_fma_f64 v[20:21], v[20:21], v[30:31], -v[63:64]
	v_fma_f64 v[4:5], v[36:37], v[26:27], -v[4:5]
	v_add_nc_u32_e32 v63, 0x210, v60
	v_add_nc_u32_e32 v64, 0x2c0, v60
	v_add_f64_e32 v[26:27], v[0:1], v[10:11]
	v_add_f64_e64 v[0:1], v[0:1], -v[10:11]
	v_add_f64_e32 v[28:29], v[14:15], v[18:19]
	v_add_f64_e64 v[14:15], v[14:15], -v[18:19]
	;; [unrolled: 2-line block ×4, first 2 shown]
	v_add_f64_e64 v[36:37], v[22:23], -v[24:25]
	v_add_f64_e32 v[12:13], v[4:5], v[20:21]
	v_add_f64_e64 v[20:21], v[4:5], -v[20:21]
	v_add_f64_e32 v[4:5], v[22:23], v[24:25]
	v_add_f64_e32 v[10:11], v[26:27], v[28:29]
	v_add_f64_e64 v[44:45], v[0:1], -v[14:15]
	v_add_f64_e32 v[16:17], v[30:31], v[32:33]
	v_add_f64_e64 v[42:43], v[6:7], -v[8:9]
	v_add_f64_e64 v[18:19], v[36:37], -v[6:7]
	v_add_f64_e32 v[6:7], v[36:37], v[6:7]
	v_add_f64_e64 v[22:23], v[28:29], -v[12:13]
	v_add_f64_e64 v[24:25], v[20:21], -v[0:1]
	;; [unrolled: 1-line block ×6, first 2 shown]
	v_add_f64_e32 v[0:1], v[20:21], v[0:1]
	v_add_f64_e32 v[10:11], v[12:13], v[10:11]
	v_add_f64_e64 v[12:13], v[12:13], -v[26:27]
	v_add_f64_e64 v[26:27], v[26:27], -v[28:29]
	;; [unrolled: 1-line block ×3, first 2 shown]
	v_add_f64_e32 v[16:17], v[4:5], v[16:17]
	v_mul_f64_e32 v[32:33], s[4:5], v[42:43]
	s_wait_alu 0xfffe
	v_mul_f64_e32 v[18:19], s[0:1], v[18:19]
	v_add_f64_e32 v[6:7], v[6:7], v[8:9]
	v_mul_f64_e32 v[22:23], s[2:3], v[22:23]
	v_mul_f64_e32 v[24:25], s[0:1], v[24:25]
	;; [unrolled: 1-line block ×3, first 2 shown]
	s_mov_b32 s2, 0x36b3c0b5
	s_mov_b32 s3, 0x3fac98ee
	;; [unrolled: 1-line block ×3, first 2 shown]
	s_wait_alu 0xfffe
	v_mul_f64_e32 v[38:39], s[2:3], v[46:47]
	v_add_f64_e32 v[0:1], v[0:1], v[14:15]
	s_mov_b32 s1, 0xbfdc38aa
	v_add_f64_e32 v[4:5], v[34:35], v[10:11]
	v_mul_f64_e32 v[20:21], s[2:3], v[12:13]
	v_mul_f64_e32 v[34:35], s[4:5], v[44:45]
	v_add_f64_e32 v[2:3], v[2:3], v[16:17]
	v_fma_f64 v[8:9], v[36:37], s[6:7], v[18:19]
	v_fma_f64 v[18:19], v[42:43], s[4:5], -v[18:19]
	v_fma_f64 v[12:13], v[12:13], s[2:3], v[22:23]
	v_fma_f64 v[50:51], v[48:49], s[6:7], v[24:25]
	s_mov_b32 s7, 0x3fd5d0dc
	v_fma_f64 v[22:23], v[26:27], s[14:15], -v[22:23]
	s_wait_alu 0xfffe
	v_fma_f64 v[32:33], v[36:37], s[6:7], -v[32:33]
	v_fma_f64 v[52:53], v[28:29], s[14:15], -v[30:31]
	s_mov_b32 s15, 0x3fe77f67
	v_fma_f64 v[24:25], v[44:45], s[4:5], -v[24:25]
	s_wait_alu 0xfffe
	v_fma_f64 v[28:29], v[28:29], s[14:15], -v[38:39]
	v_mad_co_u64_u32 v[44:45], null, s10, v65, 0
	v_fma_f64 v[10:11], v[10:11], s[12:13], v[4:5]
	v_fma_f64 v[14:15], v[26:27], s[14:15], -v[20:21]
	v_fma_f64 v[20:21], v[46:47], s[2:3], v[30:31]
	v_fma_f64 v[16:17], v[16:17], s[12:13], v[2:3]
	v_fma_f64 v[26:27], v[48:49], s[6:7], -v[34:35]
	v_mad_co_u64_u32 v[30:31], null, s10, v60, 0
	v_add_nc_u32_e32 v61, 0xb0, v60
	v_mad_co_u64_u32 v[38:39], null, s10, v63, 0
	v_add_nc_u32_e32 v62, 0x160, v60
	v_mad_co_u64_u32 v[42:43], null, s10, v64, 0
	v_mad_co_u64_u32 v[46:47], null, s10, v66, 0
	s_delay_alu instid0(VALU_DEP_3)
	v_mad_co_u64_u32 v[36:37], null, s10, v62, 0
	v_fma_f64 v[54:55], v[6:7], s[0:1], v[8:9]
	v_fma_f64 v[18:19], v[6:7], s[0:1], v[18:19]
	v_mov_b32_e32 v8, v45
	v_mad_co_u64_u32 v[34:35], null, s10, v61, 0
	v_mov_b32_e32 v9, v47
	v_mad_co_u64_u32 v[48:49], null, s11, v60, v[31:32]
	v_fma_f64 v[6:7], v[6:7], s[0:1], v[32:33]
	v_fma_f64 v[49:50], v[0:1], s[0:1], v[50:51]
	v_mov_b32_e32 v31, v35
	v_mov_b32_e32 v35, v37
	;; [unrolled: 1-line block ×3, first 2 shown]
	v_add_f64_e32 v[32:33], v[12:13], v[10:11]
	v_add_f64_e32 v[22:23], v[22:23], v[10:11]
	;; [unrolled: 1-line block ×4, first 2 shown]
	v_fma_f64 v[14:15], v[0:1], s[0:1], v[24:25]
	v_fma_f64 v[0:1], v[0:1], s[0:1], v[26:27]
	v_add_f64_e32 v[51:52], v[52:53], v[16:17]
	v_add_f64_e32 v[58:59], v[28:29], v[16:17]
	v_mov_b32_e32 v39, v43
	v_mad_co_u64_u32 v[16:17], null, s11, v62, v[35:36]
	v_mad_co_u64_u32 v[20:21], null, s11, v63, v[37:38]
	s_delay_alu instid0(VALU_DEP_3) | instskip(SKIP_1) | instid1(VALU_DEP_4)
	v_mad_co_u64_u32 v[24:25], null, s11, v64, v[39:40]
	v_mad_co_u64_u32 v[25:26], null, s11, v65, v[8:9]
	v_mov_b32_e32 v37, v16
	s_delay_alu instid0(VALU_DEP_4) | instskip(NEXT) | instid1(VALU_DEP_4)
	v_mov_b32_e32 v39, v20
	v_mov_b32_e32 v43, v24
	s_delay_alu instid0(VALU_DEP_3) | instskip(SKIP_1) | instid1(VALU_DEP_4)
	v_lshlrev_b64_e32 v[36:37], 4, v[36:37]
	v_mov_b32_e32 v45, v25
	v_lshlrev_b64_e32 v[38:39], 4, v[38:39]
	v_mad_co_u64_u32 v[12:13], null, s11, v61, v[31:32]
	v_mad_co_u64_u32 v[8:9], null, s11, v66, v[9:10]
	v_add_f64_e64 v[28:29], v[32:33], -v[54:55]
	v_add_f64_e32 v[26:27], v[49:50], v[56:57]
	v_add_f64_e64 v[24:25], v[22:23], -v[6:7]
	v_add_f64_e64 v[16:17], v[10:11], -v[18:19]
	v_mov_b32_e32 v35, v12
	v_add_f64_e32 v[12:13], v[6:7], v[22:23]
	v_add_f64_e32 v[22:23], v[0:1], v[51:52]
	;; [unrolled: 1-line block ×3, first 2 shown]
	v_add_f64_e64 v[18:19], v[58:59], -v[14:15]
	v_add_f64_e32 v[14:15], v[14:15], v[58:59]
	v_add_f64_e64 v[10:11], v[51:52], -v[0:1]
	v_mov_b32_e32 v47, v8
	v_add_f64_e32 v[8:9], v[54:55], v[32:33]
	v_add_f64_e64 v[6:7], v[56:57], -v[49:50]
	v_mov_b32_e32 v31, v48
	v_add_co_u32 v48, vcc_lo, s8, v40
	s_wait_alu 0xfffd
	v_add_co_ci_u32_e32 v53, vcc_lo, s9, v41, vcc_lo
	s_delay_alu instid0(VALU_DEP_3)
	v_lshlrev_b64_e32 v[30:31], 4, v[30:31]
	v_lshlrev_b64_e32 v[34:35], 4, v[34:35]
	;; [unrolled: 1-line block ×5, first 2 shown]
	v_add_co_u32 v30, vcc_lo, v48, v30
	s_wait_alu 0xfffd
	v_add_co_ci_u32_e32 v31, vcc_lo, v53, v31, vcc_lo
	v_add_co_u32 v34, vcc_lo, v48, v34
	s_wait_alu 0xfffd
	v_add_co_ci_u32_e32 v35, vcc_lo, v53, v35, vcc_lo
	;; [unrolled: 3-line block ×7, first 2 shown]
	s_clause 0x6
	global_store_b128 v[30:31], v[2:5], off
	global_store_b128 v[34:35], v[26:29], off
	;; [unrolled: 1-line block ×7, first 2 shown]
.LBB0_53:
	s_nop 0
	s_sendmsg sendmsg(MSG_DEALLOC_VGPRS)
	s_endpgm
	.section	.rodata,"a",@progbits
	.p2align	6, 0x0
	.amdhsa_kernel fft_rtc_back_len1232_factors_2_2_2_2_11_7_wgs_176_tpt_176_halfLds_dp_ip_CI_sbrr_dirReg
		.amdhsa_group_segment_fixed_size 0
		.amdhsa_private_segment_fixed_size 0
		.amdhsa_kernarg_size 88
		.amdhsa_user_sgpr_count 2
		.amdhsa_user_sgpr_dispatch_ptr 0
		.amdhsa_user_sgpr_queue_ptr 0
		.amdhsa_user_sgpr_kernarg_segment_ptr 1
		.amdhsa_user_sgpr_dispatch_id 0
		.amdhsa_user_sgpr_private_segment_size 0
		.amdhsa_wavefront_size32 1
		.amdhsa_uses_dynamic_stack 0
		.amdhsa_enable_private_segment 0
		.amdhsa_system_sgpr_workgroup_id_x 1
		.amdhsa_system_sgpr_workgroup_id_y 0
		.amdhsa_system_sgpr_workgroup_id_z 0
		.amdhsa_system_sgpr_workgroup_info 0
		.amdhsa_system_vgpr_workitem_id 0
		.amdhsa_next_free_vgpr 133
		.amdhsa_next_free_sgpr 38
		.amdhsa_reserve_vcc 1
		.amdhsa_float_round_mode_32 0
		.amdhsa_float_round_mode_16_64 0
		.amdhsa_float_denorm_mode_32 3
		.amdhsa_float_denorm_mode_16_64 3
		.amdhsa_fp16_overflow 0
		.amdhsa_workgroup_processor_mode 1
		.amdhsa_memory_ordered 1
		.amdhsa_forward_progress 0
		.amdhsa_round_robin_scheduling 0
		.amdhsa_exception_fp_ieee_invalid_op 0
		.amdhsa_exception_fp_denorm_src 0
		.amdhsa_exception_fp_ieee_div_zero 0
		.amdhsa_exception_fp_ieee_overflow 0
		.amdhsa_exception_fp_ieee_underflow 0
		.amdhsa_exception_fp_ieee_inexact 0
		.amdhsa_exception_int_div_zero 0
	.end_amdhsa_kernel
	.text
.Lfunc_end0:
	.size	fft_rtc_back_len1232_factors_2_2_2_2_11_7_wgs_176_tpt_176_halfLds_dp_ip_CI_sbrr_dirReg, .Lfunc_end0-fft_rtc_back_len1232_factors_2_2_2_2_11_7_wgs_176_tpt_176_halfLds_dp_ip_CI_sbrr_dirReg
                                        ; -- End function
	.section	.AMDGPU.csdata,"",@progbits
; Kernel info:
; codeLenInByte = 9324
; NumSgprs: 40
; NumVgprs: 133
; ScratchSize: 0
; MemoryBound: 1
; FloatMode: 240
; IeeeMode: 1
; LDSByteSize: 0 bytes/workgroup (compile time only)
; SGPRBlocks: 4
; VGPRBlocks: 16
; NumSGPRsForWavesPerEU: 40
; NumVGPRsForWavesPerEU: 133
; Occupancy: 10
; WaveLimiterHint : 1
; COMPUTE_PGM_RSRC2:SCRATCH_EN: 0
; COMPUTE_PGM_RSRC2:USER_SGPR: 2
; COMPUTE_PGM_RSRC2:TRAP_HANDLER: 0
; COMPUTE_PGM_RSRC2:TGID_X_EN: 1
; COMPUTE_PGM_RSRC2:TGID_Y_EN: 0
; COMPUTE_PGM_RSRC2:TGID_Z_EN: 0
; COMPUTE_PGM_RSRC2:TIDIG_COMP_CNT: 0
	.text
	.p2alignl 7, 3214868480
	.fill 96, 4, 3214868480
	.type	__hip_cuid_29bd3ae9dc7ad51d,@object ; @__hip_cuid_29bd3ae9dc7ad51d
	.section	.bss,"aw",@nobits
	.globl	__hip_cuid_29bd3ae9dc7ad51d
__hip_cuid_29bd3ae9dc7ad51d:
	.byte	0                               ; 0x0
	.size	__hip_cuid_29bd3ae9dc7ad51d, 1

	.ident	"AMD clang version 19.0.0git (https://github.com/RadeonOpenCompute/llvm-project roc-6.4.0 25133 c7fe45cf4b819c5991fe208aaa96edf142730f1d)"
	.section	".note.GNU-stack","",@progbits
	.addrsig
	.addrsig_sym __hip_cuid_29bd3ae9dc7ad51d
	.amdgpu_metadata
---
amdhsa.kernels:
  - .args:
      - .actual_access:  read_only
        .address_space:  global
        .offset:         0
        .size:           8
        .value_kind:     global_buffer
      - .offset:         8
        .size:           8
        .value_kind:     by_value
      - .actual_access:  read_only
        .address_space:  global
        .offset:         16
        .size:           8
        .value_kind:     global_buffer
      - .actual_access:  read_only
        .address_space:  global
        .offset:         24
        .size:           8
        .value_kind:     global_buffer
      - .offset:         32
        .size:           8
        .value_kind:     by_value
      - .actual_access:  read_only
        .address_space:  global
        .offset:         40
        .size:           8
        .value_kind:     global_buffer
      - .actual_access:  read_only
        .address_space:  global
        .offset:         48
        .size:           8
        .value_kind:     global_buffer
      - .offset:         56
        .size:           4
        .value_kind:     by_value
      - .actual_access:  read_only
        .address_space:  global
        .offset:         64
        .size:           8
        .value_kind:     global_buffer
      - .actual_access:  read_only
        .address_space:  global
        .offset:         72
        .size:           8
        .value_kind:     global_buffer
      - .address_space:  global
        .offset:         80
        .size:           8
        .value_kind:     global_buffer
    .group_segment_fixed_size: 0
    .kernarg_segment_align: 8
    .kernarg_segment_size: 88
    .language:       OpenCL C
    .language_version:
      - 2
      - 0
    .max_flat_workgroup_size: 176
    .name:           fft_rtc_back_len1232_factors_2_2_2_2_11_7_wgs_176_tpt_176_halfLds_dp_ip_CI_sbrr_dirReg
    .private_segment_fixed_size: 0
    .sgpr_count:     40
    .sgpr_spill_count: 0
    .symbol:         fft_rtc_back_len1232_factors_2_2_2_2_11_7_wgs_176_tpt_176_halfLds_dp_ip_CI_sbrr_dirReg.kd
    .uniform_work_group_size: 1
    .uses_dynamic_stack: false
    .vgpr_count:     133
    .vgpr_spill_count: 0
    .wavefront_size: 32
    .workgroup_processor_mode: 1
amdhsa.target:   amdgcn-amd-amdhsa--gfx1201
amdhsa.version:
  - 1
  - 2
...

	.end_amdgpu_metadata
